;; amdgpu-corpus repo=ROCm/rocFFT kind=compiled arch=gfx906 opt=O3
	.text
	.amdgcn_target "amdgcn-amd-amdhsa--gfx906"
	.amdhsa_code_object_version 6
	.protected	fft_rtc_back_len56_factors_2_7_4_wgs_128_tpt_8_dim3_dp_op_CI_CI_sbcr_dirReg ; -- Begin function fft_rtc_back_len56_factors_2_7_4_wgs_128_tpt_8_dim3_dp_op_CI_CI_sbcr_dirReg
	.globl	fft_rtc_back_len56_factors_2_7_4_wgs_128_tpt_8_dim3_dp_op_CI_CI_sbcr_dirReg
	.p2align	8
	.type	fft_rtc_back_len56_factors_2_7_4_wgs_128_tpt_8_dim3_dp_op_CI_CI_sbcr_dirReg,@function
fft_rtc_back_len56_factors_2_7_4_wgs_128_tpt_8_dim3_dp_op_CI_CI_sbcr_dirReg: ; @fft_rtc_back_len56_factors_2_7_4_wgs_128_tpt_8_dim3_dp_op_CI_CI_sbcr_dirReg
; %bb.0:
	s_load_dwordx4 s[0:3], s[4:5], 0x8
	s_mov_b32 s7, 0
	s_mov_b64 s[30:31], 0
	s_waitcnt lgkmcnt(0)
	s_load_dwordx2 s[20:21], s[0:1], 0x8
	s_waitcnt lgkmcnt(0)
	s_add_u32 s8, s20, -1
	s_addc_u32 s9, s21, -1
	s_lshr_b64 s[8:9], s[8:9], 4
	s_add_u32 s22, s8, 1
	s_addc_u32 s23, s9, 0
	v_mov_b32_e32 v1, s22
	v_mov_b32_e32 v2, s23
	v_cmp_lt_u64_e32 vcc, s[6:7], v[1:2]
	s_cbranch_vccnz .LBB0_2
; %bb.1:
	v_cvt_f32_u32_e32 v1, s22
	s_sub_i32 s8, 0, s22
	s_mov_b32 s31, s7
	v_rcp_iflag_f32_e32 v1, v1
	v_mul_f32_e32 v1, 0x4f7ffffe, v1
	v_cvt_u32_f32_e32 v1, v1
	v_readfirstlane_b32 s9, v1
	s_mul_i32 s8, s8, s9
	s_mul_hi_u32 s8, s9, s8
	s_add_i32 s9, s9, s8
	s_mul_hi_u32 s8, s6, s9
	s_mul_i32 s10, s8, s22
	s_sub_i32 s10, s6, s10
	s_add_i32 s9, s8, 1
	s_sub_i32 s11, s10, s22
	s_cmp_ge_u32 s10, s22
	s_cselect_b32 s8, s9, s8
	s_cselect_b32 s10, s11, s10
	s_add_i32 s9, s8, 1
	s_cmp_ge_u32 s10, s22
	s_cselect_b32 s30, s9, s8
.LBB0_2:
	s_load_dwordx2 s[10:11], s[0:1], 0x10
	s_load_dwordx2 s[8:9], s[4:5], 0x18
	s_load_dwordx2 s[26:27], s[2:3], 0x8
	s_mov_b64 s[16:17], s[30:31]
	s_waitcnt lgkmcnt(0)
	v_mov_b32_e32 v1, s10
	v_mov_b32_e32 v2, s11
	v_cmp_lt_u64_e32 vcc, s[30:31], v[1:2]
	s_cbranch_vccnz .LBB0_4
; %bb.3:
	v_cvt_f32_u32_e32 v1, s10
	s_sub_i32 s0, 0, s10
	v_rcp_iflag_f32_e32 v1, v1
	v_mul_f32_e32 v1, 0x4f7ffffe, v1
	v_cvt_u32_f32_e32 v1, v1
	v_readfirstlane_b32 s1, v1
	s_mul_i32 s0, s0, s1
	s_mul_hi_u32 s0, s1, s0
	s_add_i32 s1, s1, s0
	s_mul_hi_u32 s0, s30, s1
	s_mul_i32 s0, s0, s10
	s_sub_i32 s0, s30, s0
	s_sub_i32 s1, s0, s10
	s_cmp_ge_u32 s0, s10
	s_cselect_b32 s0, s1, s0
	s_sub_i32 s1, s0, s10
	s_cmp_ge_u32 s0, s10
	s_cselect_b32 s16, s1, s0
.LBB0_4:
	s_mul_i32 s0, s10, s23
	s_mul_hi_u32 s1, s10, s22
	s_add_i32 s0, s1, s0
	s_mul_i32 s1, s11, s22
	s_mul_i32 s10, s10, s22
	s_load_dwordx2 s[28:29], s[4:5], 0x50
	s_add_i32 s11, s0, s1
	s_load_dwordx2 s[24:25], s[2:3], 0x0
	s_load_dwordx2 s[0:1], s[2:3], 0x10
	v_mov_b32_e32 v1, s10
	v_mov_b32_e32 v2, s11
	v_cmp_lt_u64_e32 vcc, s[6:7], v[1:2]
	s_mov_b64 s[18:19], 0
	s_cbranch_vccnz .LBB0_6
; %bb.5:
	v_cvt_f32_u32_e32 v1, s10
	s_sub_i32 s7, 0, s10
	v_rcp_iflag_f32_e32 v1, v1
	v_mul_f32_e32 v1, 0x4f7ffffe, v1
	v_cvt_u32_f32_e32 v1, v1
	v_readfirstlane_b32 s11, v1
	s_mul_i32 s7, s7, s11
	s_mul_hi_u32 s7, s11, s7
	s_add_i32 s11, s11, s7
	s_mul_hi_u32 s7, s6, s11
	s_mul_i32 s12, s7, s10
	s_sub_i32 s12, s6, s12
	s_add_i32 s11, s7, 1
	s_sub_i32 s13, s12, s10
	s_cmp_ge_u32 s12, s10
	s_cselect_b32 s7, s11, s7
	s_cselect_b32 s12, s13, s12
	s_add_i32 s11, s7, 1
	s_cmp_ge_u32 s12, s10
	s_cselect_b32 s18, s11, s7
.LBB0_6:
	s_mul_i32 s7, s30, s23
	s_mul_hi_u32 s17, s30, s22
	s_add_i32 s17, s17, s7
	s_mul_i32 s7, s30, s22
	s_sub_u32 s22, s6, s7
	s_subb_u32 s23, 0, s17
	v_mov_b32_e32 v1, s22
	v_alignbit_b32 v1, s23, v1, 28
	s_lshl_b64 s[6:7], s[22:23], 4
	v_readfirstlane_b32 s17, v1
	s_load_dwordx2 s[2:3], s[2:3], 0x18
	s_mul_i32 s17, s26, s17
	s_mul_hi_u32 s19, s26, s6
	s_add_i32 s17, s19, s17
	s_mul_i32 s19, s27, s6
	s_waitcnt lgkmcnt(0)
	s_mul_i32 s1, s1, s16
	s_mul_hi_u32 s22, s0, s16
	s_add_i32 s17, s17, s19
	s_mul_i32 s19, s26, s6
	s_add_i32 s22, s22, s1
	s_mul_i32 s0, s0, s16
	s_add_u32 s0, s0, s19
	s_addc_u32 s1, s22, s17
	s_mul_i32 s3, s3, s18
	s_mul_hi_u32 s17, s2, s18
	s_add_i32 s17, s17, s3
	s_mul_i32 s2, s2, s18
	s_add_u32 s30, s2, s0
	s_addc_u32 s31, s17, s1
	s_load_dwordx8 s[8:15], s[8:9], 0x0
	s_add_u32 s2, s6, 16
	v_mov_b32_e32 v1, s20
	s_addc_u32 s3, s7, 0
	v_mov_b32_e32 v2, s21
	v_cmp_gt_u64_e32 vcc, s[2:3], v[1:2]
	v_lshrrev_b32_e32 v35, 4, v0
	v_and_b32_e32 v33, 15, v0
	v_or_b32_e32 v34, 8, v35
	v_or_b32_e32 v37, 16, v35
	v_cmp_gt_u32_e64 s[0:1], 64, v0
	s_cbranch_vccnz .LBB0_10
; %bb.7:
	v_mad_u64_u32 v[1:2], s[22:23], s26, v33, 0
	v_mad_u64_u32 v[3:4], s[22:23], s24, v35, 0
	v_add_u32_e32 v8, 28, v35
	v_or_b32_e32 v36, 8, v35
	v_mad_u64_u32 v[5:6], s[22:23], s27, v33, v[2:3]
	v_mov_b32_e32 v2, v4
	v_mad_u64_u32 v[6:7], s[22:23], s25, v35, v[2:3]
	s_lshl_b64 s[22:23], s[30:31], 4
	s_add_u32 s17, s28, s22
	v_mov_b32_e32 v2, v5
	v_mov_b32_e32 v4, v6
	s_addc_u32 s19, s29, s23
	v_mad_u64_u32 v[5:6], s[22:23], s24, v8, 0
	v_lshlrev_b64 v[1:2], 4, v[1:2]
	v_mov_b32_e32 v7, s19
	v_add_co_u32_e32 v27, vcc, s17, v1
	v_addc_co_u32_e32 v28, vcc, v7, v2, vcc
	v_lshlrev_b64 v[1:2], 4, v[3:4]
	v_mov_b32_e32 v3, v6
	v_mad_u64_u32 v[3:4], s[22:23], s25, v8, v[3:4]
	v_mad_u64_u32 v[11:12], s[22:23], s24, v36, 0
	v_add_co_u32_e32 v9, vcc, v27, v1
	v_mov_b32_e32 v6, v3
	v_addc_co_u32_e32 v10, vcc, v28, v2, vcc
	v_lshlrev_b64 v[1:2], 4, v[5:6]
	v_add_u32_e32 v18, 36, v35
	v_add_co_u32_e32 v13, vcc, v27, v1
	v_mov_b32_e32 v1, v12
	v_mad_u64_u32 v[15:16], s[22:23], s25, v36, v[1:2]
	v_mad_u64_u32 v[16:17], s[22:23], s24, v18, 0
	v_mov_b32_e32 v12, v15
	v_addc_co_u32_e32 v14, vcc, v28, v2, vcc
	global_load_dwordx4 v[1:4], v[9:10], off
	global_load_dwordx4 v[5:8], v[13:14], off
	v_lshlrev_b64 v[9:10], 4, v[11:12]
	v_mov_b32_e32 v11, v17
	v_mad_u64_u32 v[11:12], s[22:23], s25, v18, v[11:12]
	v_or_b32_e32 v38, 16, v35
	v_mad_u64_u32 v[12:13], s[22:23], s24, v38, 0
	v_mov_b32_e32 v17, v11
	v_add_co_u32_e32 v18, vcc, v27, v9
	v_mov_b32_e32 v11, v13
	v_mad_u64_u32 v[13:14], s[22:23], s25, v38, v[11:12]
	v_add_u32_e32 v14, 44, v35
	v_mad_u64_u32 v[20:21], s[22:23], s24, v14, 0
	v_addc_co_u32_e32 v19, vcc, v28, v10, vcc
	v_lshlrev_b64 v[9:10], 4, v[16:17]
	v_mov_b32_e32 v11, v21
	v_mad_u64_u32 v[24:25], s[22:23], s25, v14, v[11:12]
	v_add_co_u32_e32 v22, vcc, v27, v9
	v_addc_co_u32_e32 v23, vcc, v28, v10, vcc
	v_lshlrev_b64 v[9:10], 4, v[12:13]
	v_mov_b32_e32 v21, v24
	v_add_co_u32_e32 v25, vcc, v27, v9
	v_addc_co_u32_e32 v26, vcc, v28, v10, vcc
	global_load_dwordx4 v[13:16], v[18:19], off
	global_load_dwordx4 v[9:12], v[22:23], off
	v_lshlrev_b64 v[17:18], 4, v[20:21]
	v_add_co_u32_e32 v29, vcc, v27, v17
	v_addc_co_u32_e32 v30, vcc, v28, v18, vcc
	global_load_dwordx4 v[17:20], v[25:26], off
	global_load_dwordx4 v[21:24], v[29:30], off
                                        ; implicit-def: $vgpr29_vgpr30
                                        ; implicit-def: $vgpr25_vgpr26
	s_and_saveexec_b64 s[22:23], s[0:1]
	s_cbranch_execz .LBB0_9
; %bb.8:
	v_or_b32_e32 v31, 24, v35
	v_mad_u64_u32 v[25:26], s[0:1], s24, v31, 0
	v_or_b32_e32 v39, 52, v35
	v_mad_u64_u32 v[29:30], s[0:1], s24, v39, 0
	v_mad_u64_u32 v[31:32], s[0:1], s25, v31, v[26:27]
	v_mov_b32_e32 v26, v31
	v_mad_u64_u32 v[30:31], s[0:1], s25, v39, v[30:31]
	v_lshlrev_b64 v[25:26], 4, v[25:26]
	v_add_co_u32_e32 v39, vcc, v27, v25
	v_addc_co_u32_e32 v40, vcc, v28, v26, vcc
	v_lshlrev_b64 v[25:26], 4, v[29:30]
	v_add_co_u32_e32 v41, vcc, v27, v25
	v_addc_co_u32_e32 v42, vcc, v28, v26, vcc
	global_load_dwordx4 v[25:28], v[39:40], off
	global_load_dwordx4 v[29:32], v[41:42], off
.LBB0_9:
	s_or_b64 exec, exec, s[22:23]
	s_load_dwordx2 s[22:23], s[4:5], 0x0
	s_cbranch_execz .LBB0_11
	s_branch .LBB0_18
.LBB0_10:
                                        ; implicit-def: $vgpr1_vgpr2
                                        ; implicit-def: $vgpr9_vgpr10
                                        ; implicit-def: $vgpr17_vgpr18
                                        ; implicit-def: $vgpr29_vgpr30
                                        ; implicit-def: $vgpr25_vgpr26
                                        ; implicit-def: $vgpr21_vgpr22
                                        ; implicit-def: $vgpr36
                                        ; implicit-def: $vgpr38
                                        ; implicit-def: $vgpr13_vgpr14
                                        ; implicit-def: $vgpr5_vgpr6
	s_load_dwordx2 s[22:23], s[4:5], 0x0
.LBB0_11:
	s_waitcnt vmcnt(5)
	v_mov_b32_e32 v2, s7
	v_or_b32_e32 v1, s6, v33
	v_cmp_le_u64_e32 vcc, s[20:21], v[1:2]
                                        ; implicit-def: $vgpr36
                                        ; implicit-def: $vgpr38
	s_and_saveexec_b64 s[0:1], vcc
	s_xor_b64 s[0:1], exec, s[0:1]
; %bb.12:
	v_or_b32_e32 v36, 8, v35
	v_or_b32_e32 v38, 16, v35
                                        ; implicit-def: $vgpr34
                                        ; implicit-def: $vgpr37
; %bb.13:
	s_or_saveexec_b64 s[0:1], s[0:1]
                                        ; implicit-def: $vgpr1_vgpr2
                                        ; implicit-def: $vgpr9_vgpr10
                                        ; implicit-def: $vgpr17_vgpr18
                                        ; implicit-def: $vgpr29_vgpr30
                                        ; implicit-def: $vgpr25_vgpr26
                                        ; implicit-def: $vgpr21_vgpr22
                                        ; implicit-def: $vgpr13_vgpr14
                                        ; implicit-def: $vgpr5_vgpr6
	s_xor_b64 exec, exec, s[0:1]
	s_cbranch_execz .LBB0_17
; %bb.14:
	v_mad_u64_u32 v[1:2], s[34:35], s26, v33, 0
	v_mad_u64_u32 v[3:4], s[34:35], s24, v35, 0
	s_waitcnt vmcnt(4)
	v_add_u32_e32 v8, 28, v35
	s_waitcnt vmcnt(1)
	v_add_u32_e32 v18, 36, v35
	v_mad_u64_u32 v[5:6], s[26:27], s27, v33, v[2:3]
	v_mov_b32_e32 v2, v4
	v_mad_u64_u32 v[6:7], s[26:27], s25, v35, v[2:3]
	s_lshl_b64 s[26:27], s[30:31], 4
	s_add_u32 s17, s28, s26
	v_mov_b32_e32 v2, v5
	v_mov_b32_e32 v4, v6
	s_addc_u32 s19, s29, s27
	v_mad_u64_u32 v[5:6], s[26:27], s24, v8, 0
	v_lshlrev_b64 v[1:2], 4, v[1:2]
	v_mov_b32_e32 v7, s19
	v_add_co_u32_e32 v27, vcc, s17, v1
	v_addc_co_u32_e32 v28, vcc, v7, v2, vcc
	v_lshlrev_b64 v[1:2], 4, v[3:4]
	v_mov_b32_e32 v3, v6
	v_mad_u64_u32 v[3:4], s[26:27], s25, v8, v[3:4]
	v_mad_u64_u32 v[11:12], s[26:27], s24, v34, 0
	v_add_co_u32_e32 v9, vcc, v27, v1
	v_mov_b32_e32 v6, v3
	v_addc_co_u32_e32 v10, vcc, v28, v2, vcc
	v_lshlrev_b64 v[1:2], 4, v[5:6]
	s_waitcnt vmcnt(0)
	v_mad_u64_u32 v[20:21], s[26:27], s24, v37, 0
	v_add_co_u32_e32 v13, vcc, v27, v1
	v_mov_b32_e32 v1, v12
	v_mad_u64_u32 v[15:16], s[26:27], s25, v34, v[1:2]
	v_mad_u64_u32 v[16:17], s[26:27], s24, v18, 0
	v_mov_b32_e32 v12, v15
	v_addc_co_u32_e32 v14, vcc, v28, v2, vcc
	global_load_dwordx4 v[1:4], v[9:10], off
	global_load_dwordx4 v[5:8], v[13:14], off
	v_lshlrev_b64 v[9:10], 4, v[11:12]
	v_mov_b32_e32 v11, v17
	v_mad_u64_u32 v[11:12], s[26:27], s25, v18, v[11:12]
	v_add_co_u32_e32 v18, vcc, v27, v9
	v_mov_b32_e32 v17, v11
	v_addc_co_u32_e32 v19, vcc, v28, v10, vcc
	v_lshlrev_b64 v[9:10], 4, v[16:17]
	v_add_u32_e32 v29, 44, v35
	v_add_co_u32_e32 v22, vcc, v27, v9
	v_mov_b32_e32 v9, v21
	v_mad_u64_u32 v[24:25], s[26:27], s25, v37, v[9:10]
	v_mad_u64_u32 v[25:26], s[26:27], s24, v29, 0
	v_addc_co_u32_e32 v23, vcc, v28, v10, vcc
	global_load_dwordx4 v[13:16], v[18:19], off
	global_load_dwordx4 v[9:12], v[22:23], off
	v_mov_b32_e32 v21, v24
	v_mov_b32_e32 v19, v26
	v_lshlrev_b64 v[17:18], 4, v[20:21]
	v_mad_u64_u32 v[19:20], s[26:27], s25, v29, v[19:20]
	v_add_co_u32_e32 v29, vcc, v27, v17
	v_mov_b32_e32 v26, v19
	v_addc_co_u32_e32 v30, vcc, v28, v18, vcc
	v_lshlrev_b64 v[17:18], 4, v[25:26]
	v_add_co_u32_e32 v25, vcc, v27, v17
	v_addc_co_u32_e32 v26, vcc, v28, v18, vcc
	global_load_dwordx4 v[17:20], v[29:30], off
	global_load_dwordx4 v[21:24], v[25:26], off
	v_cmp_gt_u32_e32 vcc, 64, v0
                                        ; implicit-def: $vgpr29_vgpr30
                                        ; implicit-def: $vgpr25_vgpr26
	s_and_saveexec_b64 s[26:27], vcc
	s_cbranch_execz .LBB0_16
; %bb.15:
	v_or_b32_e32 v31, 24, v35
	v_mad_u64_u32 v[25:26], s[28:29], s24, v31, 0
	v_or_b32_e32 v36, 52, v35
	v_mad_u64_u32 v[29:30], s[28:29], s24, v36, 0
	v_mad_u64_u32 v[31:32], s[28:29], s25, v31, v[26:27]
	v_mov_b32_e32 v26, v31
	v_mad_u64_u32 v[30:31], s[24:25], s25, v36, v[30:31]
	v_lshlrev_b64 v[25:26], 4, v[25:26]
	v_add_co_u32_e32 v38, vcc, v27, v25
	v_addc_co_u32_e32 v39, vcc, v28, v26, vcc
	v_lshlrev_b64 v[25:26], 4, v[29:30]
	v_add_co_u32_e32 v40, vcc, v27, v25
	v_addc_co_u32_e32 v41, vcc, v28, v26, vcc
	global_load_dwordx4 v[25:28], v[38:39], off
	global_load_dwordx4 v[29:32], v[40:41], off
.LBB0_16:
	s_or_b64 exec, exec, s[26:27]
	v_mov_b32_e32 v36, v34
	v_mov_b32_e32 v38, v37
.LBB0_17:
	s_or_b64 exec, exec, s[0:1]
.LBB0_18:
	s_waitcnt vmcnt(4)
	v_add_f64 v[39:40], v[1:2], -v[5:6]
	v_add_f64 v[41:42], v[3:4], -v[7:8]
	s_waitcnt vmcnt(2)
	v_add_f64 v[7:8], v[13:14], -v[9:10]
	v_add_f64 v[9:10], v[15:16], -v[11:12]
	;; [unrolled: 3-line block ×3, first 2 shown]
	v_lshl_add_u32 v5, v35, 9, 0
	v_lshlrev_b32_e32 v37, 4, v33
	v_fma_f64 v[43:44], v[1:2], 2.0, -v[39:40]
	v_fma_f64 v[45:46], v[3:4], 2.0, -v[41:42]
	;; [unrolled: 1-line block ×6, first 2 shown]
	v_add_f64 v[1:2], v[25:26], -v[29:30]
	v_add_f64 v[3:4], v[27:28], -v[31:32]
	v_add_u32_e32 v6, v5, v37
	ds_write_b128 v6, v[43:46]
	ds_write_b128 v6, v[39:42] offset:256
	v_lshl_add_u32 v6, v36, 9, 0
	v_add_u32_e32 v19, v6, v37
	ds_write_b128 v19, v[11:14]
	ds_write_b128 v19, v[7:10] offset:256
	v_lshl_add_u32 v7, v38, 9, 0
	v_add_u32_e32 v8, v7, v37
	ds_write_b128 v8, v[15:18]
	ds_write_b128 v8, v[21:24] offset:256
	v_or_b32_e32 v8, 24, v35
	v_cmp_gt_u32_e32 vcc, 64, v0
	s_and_saveexec_b64 s[0:1], vcc
	s_cbranch_execz .LBB0_20
; %bb.19:
	v_fma_f64 v[11:12], v[27:28], 2.0, -v[3:4]
	v_fma_f64 v[9:10], v[25:26], 2.0, -v[1:2]
	v_lshlrev_b32_e32 v13, 9, v8
	v_add3_u32 v13, 0, v13, v37
	ds_write_b128 v13, v[9:12]
	ds_write_b128 v13, v[1:4] offset:256
.LBB0_20:
	s_or_b64 exec, exec, s[0:1]
	v_bfe_u32 v17, v0, 4, 1
	v_mul_u32_u24_e32 v9, 6, v17
	v_lshlrev_b32_e32 v34, 4, v9
	s_waitcnt lgkmcnt(0)
	s_barrier
	global_load_dwordx4 v[9:12], v34, s[22:23]
	global_load_dwordx4 v[13:16], v34, s[22:23] offset:16
	global_load_dwordx4 v[18:21], v34, s[22:23] offset:80
	;; [unrolled: 1-line block ×5, first 2 shown]
	v_lshlrev_b32_e32 v34, 8, v36
	v_lshlrev_b32_e32 v39, 8, v38
	;; [unrolled: 1-line block ×3, first 2 shown]
	v_sub_u32_e32 v6, v6, v34
	v_sub_u32_e32 v7, v7, v39
	v_add_u32_e32 v40, v6, v37
	v_sub_u32_e32 v5, v5, v38
	v_add_u32_e32 v6, v7, v37
	v_lshlrev_b32_e32 v53, 8, v8
	ds_read_b128 v[41:44], v40
	v_add_u32_e32 v39, v5, v37
	ds_read_b128 v[5:8], v6
	ds_read_b128 v[45:48], v39 offset:10240
	ds_read_b128 v[49:52], v39 offset:12288
	v_add3_u32 v34, 0, v53, v37
	ds_read_b128 v[53:56], v34
	s_mov_b32 s0, 0x37e14327
	s_mov_b32 s24, 0x36b3c0b5
	;; [unrolled: 1-line block ×16, first 2 shown]
	v_lshrrev_b32_e32 v34, 5, v0
	v_mul_u32_u24_e32 v34, 14, v34
	v_or_b32_e32 v17, v34, v17
	v_lshlrev_b32_e32 v17, 8, v17
	v_add3_u32 v17, 0, v17, v37
	s_waitcnt vmcnt(5) lgkmcnt(4)
	v_mul_f64 v[57:58], v[43:44], v[11:12]
	s_waitcnt vmcnt(4) lgkmcnt(3)
	v_mul_f64 v[59:60], v[7:8], v[15:16]
	v_mul_f64 v[15:16], v[5:6], v[15:16]
	;; [unrolled: 1-line block ×3, first 2 shown]
	v_fma_f64 v[41:42], v[41:42], v[9:10], v[57:58]
	s_waitcnt vmcnt(3) lgkmcnt(1)
	v_mul_f64 v[57:58], v[51:52], v[20:21]
	v_mul_f64 v[20:21], v[49:50], v[20:21]
	v_fma_f64 v[59:60], v[5:6], v[13:14], v[59:60]
	v_fma_f64 v[13:14], v[7:8], v[13:14], -v[15:16]
	s_waitcnt vmcnt(2)
	v_mul_f64 v[15:16], v[47:48], v[24:25]
	v_mul_f64 v[24:25], v[45:46], v[24:25]
	v_fma_f64 v[43:44], v[43:44], v[9:10], -v[11:12]
	ds_read_b128 v[5:8], v39 offset:8192
	ds_read_b128 v[9:12], v39
	v_fma_f64 v[49:50], v[49:50], v[18:19], v[57:58]
	v_fma_f64 v[18:19], v[51:52], v[18:19], -v[20:21]
	s_waitcnt vmcnt(1) lgkmcnt(2)
	v_mul_f64 v[20:21], v[55:56], v[28:29]
	v_mul_f64 v[28:29], v[53:54], v[28:29]
	s_waitcnt vmcnt(0) lgkmcnt(1)
	v_mul_f64 v[51:52], v[7:8], v[32:33]
	v_mul_f64 v[32:33], v[5:6], v[32:33]
	v_fma_f64 v[15:16], v[45:46], v[22:23], v[15:16]
	v_fma_f64 v[22:23], v[47:48], v[22:23], -v[24:25]
	s_waitcnt lgkmcnt(0)
	s_barrier
	v_fma_f64 v[20:21], v[53:54], v[26:27], v[20:21]
	v_fma_f64 v[24:25], v[55:56], v[26:27], -v[28:29]
	v_fma_f64 v[5:6], v[5:6], v[30:31], v[51:52]
	v_fma_f64 v[7:8], v[7:8], v[30:31], -v[32:33]
	v_add_f64 v[26:27], v[41:42], v[49:50]
	v_add_f64 v[28:29], v[43:44], v[18:19]
	v_add_f64 v[30:31], v[59:60], v[15:16]
	v_add_f64 v[32:33], v[13:14], v[22:23]
	v_add_f64 v[18:19], v[43:44], -v[18:19]
	v_add_f64 v[15:16], v[59:60], -v[15:16]
	v_add_f64 v[43:44], v[20:21], v[5:6]
	v_add_f64 v[5:6], v[5:6], -v[20:21]
	v_add_f64 v[20:21], v[24:25], v[7:8]
	v_add_f64 v[13:14], v[13:14], -v[22:23]
	v_add_f64 v[7:8], v[7:8], -v[24:25]
	v_add_f64 v[22:23], v[30:31], v[26:27]
	v_add_f64 v[24:25], v[32:33], v[28:29]
	v_add_f64 v[41:42], v[41:42], -v[49:50]
	v_add_f64 v[45:46], v[30:31], -v[26:27]
	;; [unrolled: 1-line block ×3, first 2 shown]
	v_add_f64 v[47:48], v[5:6], v[15:16]
	v_add_f64 v[30:31], v[43:44], -v[30:31]
	v_add_f64 v[49:50], v[32:33], -v[28:29]
	;; [unrolled: 1-line block ×5, first 2 shown]
	v_add_f64 v[53:54], v[7:8], v[13:14]
	v_add_f64 v[55:56], v[7:8], -v[13:14]
	v_add_f64 v[22:23], v[43:44], v[22:23]
	v_add_f64 v[24:25], v[20:21], v[24:25]
	v_add_f64 v[15:16], v[15:16], -v[41:42]
	v_add_f64 v[13:14], v[13:14], -v[18:19]
	;; [unrolled: 1-line block ×4, first 2 shown]
	v_add_f64 v[41:42], v[47:48], v[41:42]
	v_add_f64 v[43:44], v[53:54], v[18:19]
	v_mul_f64 v[26:27], v[26:27], s[0:1]
	v_mul_f64 v[47:48], v[30:31], s[24:25]
	;; [unrolled: 1-line block ×6, first 2 shown]
	v_add_f64 v[18:19], v[9:10], v[22:23]
	v_add_f64 v[20:21], v[11:12], v[24:25]
	v_mul_f64 v[57:58], v[15:16], s[30:31]
	v_mul_f64 v[59:60], v[13:14], s[30:31]
	v_fma_f64 v[9:10], v[30:31], s[24:25], v[26:27]
	v_fma_f64 v[11:12], v[45:46], s[26:27], -v[47:48]
	v_fma_f64 v[30:31], v[49:50], s[26:27], -v[53:54]
	s_mov_b32 s27, 0xbfe77f67
	v_fma_f64 v[32:33], v[32:33], s[24:25], v[28:29]
	v_fma_f64 v[15:16], v[15:16], s[30:31], -v[51:52]
	v_fma_f64 v[47:48], v[5:6], s[28:29], v[51:52]
	v_fma_f64 v[51:52], v[7:8], s[28:29], v[55:56]
	s_mov_b32 s29, 0x3fd5d0dc
	v_fma_f64 v[22:23], v[22:23], s[36:37], v[18:19]
	v_fma_f64 v[24:25], v[24:25], s[36:37], v[20:21]
	v_fma_f64 v[13:14], v[13:14], s[30:31], -v[55:56]
	v_fma_f64 v[26:27], v[45:46], s[26:27], -v[26:27]
	;; [unrolled: 1-line block ×5, first 2 shown]
	v_fma_f64 v[45:46], v[41:42], s[38:39], v[47:48]
	v_fma_f64 v[47:48], v[43:44], s[38:39], v[51:52]
	v_add_f64 v[49:50], v[9:10], v[22:23]
	v_add_f64 v[51:52], v[32:33], v[24:25]
	v_fma_f64 v[15:16], v[41:42], s[38:39], v[15:16]
	v_fma_f64 v[13:14], v[43:44], s[38:39], v[13:14]
	;; [unrolled: 1-line block ×4, first 2 shown]
	v_add_f64 v[53:54], v[26:27], v[22:23]
	v_add_f64 v[55:56], v[28:29], v[24:25]
	;; [unrolled: 1-line block ×5, first 2 shown]
	v_add_f64 v[24:25], v[51:52], -v[45:46]
	s_movk_i32 s0, 0x60
	v_add_f64 v[30:31], v[43:44], v[53:54]
	v_add_f64 v[32:33], v[55:56], -v[41:42]
	v_add_f64 v[26:27], v[9:10], -v[13:14]
	v_add_f64 v[28:29], v[15:16], v[11:12]
	v_add_f64 v[5:6], v[13:14], v[9:10]
	v_add_f64 v[7:8], v[11:12], -v[15:16]
	v_add_f64 v[9:10], v[53:54], -v[43:44]
	v_add_f64 v[11:12], v[41:42], v[55:56]
	v_add_f64 v[13:14], v[49:50], -v[47:48]
	v_add_f64 v[15:16], v[45:46], v[51:52]
	ds_write_b128 v17, v[18:21]
	ds_write_b128 v17, v[22:25] offset:512
	ds_write_b128 v17, v[30:33] offset:1024
	;; [unrolled: 1-line block ×6, first 2 shown]
	s_waitcnt lgkmcnt(0)
	s_barrier
	ds_read_b128 v[17:20], v39
	ds_read_b128 v[29:32], v39 offset:3584
	ds_read_b128 v[25:28], v39 offset:7168
	;; [unrolled: 1-line block ×3, first 2 shown]
	v_mov_b32_e32 v34, s21
	v_mov_b32_e32 v33, s20
	v_cmp_gt_u32_e32 vcc, s0, v0
	s_and_saveexec_b64 s[0:1], vcc
	s_cbranch_execz .LBB0_22
; %bb.21:
	ds_read_b128 v[9:12], v39 offset:5632
	ds_read_b128 v[13:16], v39 offset:9216
	ds_read_b128 v[5:8], v40
	ds_read_b128 v[1:4], v39 offset:12800
.LBB0_22:
	s_or_b64 exec, exec, s[0:1]
	v_mul_lo_u16_e32 v35, 3, v35
	v_lshlrev_b32_e32 v35, 4, v35
	global_load_dwordx4 v[39:42], v35, s[22:23] offset:192
	global_load_dwordx4 v[43:46], v35, s[22:23] offset:208
	global_load_dwordx4 v[47:50], v35, s[22:23] offset:224
	s_load_dwordx2 s[4:5], s[4:5], 0x58
	v_cmp_le_u64_e64 s[0:1], s[2:3], v[33:34]
	v_add3_u32 v33, 0, v38, v37
	s_waitcnt vmcnt(0) lgkmcnt(0)
	s_barrier
	v_mul_f64 v[51:52], v[31:32], v[41:42]
	v_mul_f64 v[41:42], v[29:30], v[41:42]
	;; [unrolled: 1-line block ×6, first 2 shown]
	v_fma_f64 v[29:30], v[29:30], v[39:40], v[51:52]
	v_fma_f64 v[31:32], v[31:32], v[39:40], -v[41:42]
	v_fma_f64 v[25:26], v[25:26], v[43:44], v[53:54]
	v_fma_f64 v[27:28], v[27:28], v[43:44], -v[45:46]
	;; [unrolled: 2-line block ×3, first 2 shown]
	v_add_f64 v[25:26], v[17:18], -v[25:26]
	v_add_f64 v[27:28], v[19:20], -v[27:28]
	;; [unrolled: 1-line block ×4, first 2 shown]
	v_fma_f64 v[39:40], v[17:18], 2.0, -v[25:26]
	v_fma_f64 v[41:42], v[19:20], 2.0, -v[27:28]
	;; [unrolled: 1-line block ×4, first 2 shown]
	v_add_f64 v[17:18], v[25:26], v[23:24]
	v_add_f64 v[19:20], v[27:28], -v[21:22]
	v_add_f64 v[21:22], v[39:40], -v[29:30]
	;; [unrolled: 1-line block ×3, first 2 shown]
	v_fma_f64 v[25:26], v[25:26], 2.0, -v[17:18]
	v_fma_f64 v[27:28], v[27:28], 2.0, -v[19:20]
	;; [unrolled: 1-line block ×4, first 2 shown]
	ds_write_b128 v33, v[25:28] offset:3584
	ds_write_b128 v33, v[21:24] offset:7168
	ds_write_b128 v33, v[29:32]
	ds_write_b128 v33, v[17:20] offset:10752
	s_and_saveexec_b64 s[2:3], vcc
	s_cbranch_execz .LBB0_24
; %bb.23:
	v_lshrrev_b16_e32 v17, 1, v36
	v_and_b32_e32 v17, 0x7f, v17
	v_mul_lo_u16_e32 v17, 0x93, v17
	v_lshrrev_b16_e32 v17, 10, v17
	v_mul_lo_u16_e32 v17, 14, v17
	v_sub_u16_e32 v17, v36, v17
	v_mul_lo_u16_e32 v17, 3, v17
	v_mov_b32_e32 v18, 4
	v_lshlrev_b32_sdwa v29, v18, v17 dst_sel:DWORD dst_unused:UNUSED_PAD src0_sel:DWORD src1_sel:BYTE_0
	global_load_dwordx4 v[17:20], v29, s[22:23] offset:208
	global_load_dwordx4 v[21:24], v29, s[22:23] offset:192
	;; [unrolled: 1-line block ×3, first 2 shown]
	s_waitcnt vmcnt(2)
	v_mul_f64 v[29:30], v[13:14], v[19:20]
	s_waitcnt vmcnt(1)
	v_mul_f64 v[31:32], v[11:12], v[23:24]
	v_mul_f64 v[23:24], v[9:10], v[23:24]
	s_waitcnt vmcnt(0)
	v_mul_f64 v[33:34], v[1:2], v[27:28]
	v_mul_f64 v[19:20], v[15:16], v[19:20]
	;; [unrolled: 1-line block ×3, first 2 shown]
	v_fma_f64 v[15:16], v[15:16], v[17:18], -v[29:30]
	v_fma_f64 v[9:10], v[9:10], v[21:22], v[31:32]
	v_fma_f64 v[11:12], v[11:12], v[21:22], -v[23:24]
	v_fma_f64 v[3:4], v[3:4], v[25:26], -v[33:34]
	v_fma_f64 v[13:14], v[13:14], v[17:18], v[19:20]
	v_fma_f64 v[1:2], v[1:2], v[25:26], v[27:28]
	v_add_f64 v[15:16], v[7:8], -v[15:16]
	v_add_f64 v[17:18], v[11:12], -v[3:4]
	;; [unrolled: 1-line block ×4, first 2 shown]
	v_fma_f64 v[19:20], v[7:8], 2.0, -v[15:16]
	v_fma_f64 v[7:8], v[11:12], 2.0, -v[17:18]
	;; [unrolled: 1-line block ×4, first 2 shown]
	v_add_f64 v[3:4], v[15:16], -v[1:2]
	v_add_f64 v[1:2], v[13:14], v[17:18]
	v_and_b32_e32 v17, 0x70, v0
	v_lshlrev_b32_e32 v17, 4, v17
	v_add3_u32 v17, 0, v17, v37
	v_add_f64 v[7:8], v[19:20], -v[7:8]
	v_add_f64 v[5:6], v[21:22], -v[5:6]
	v_fma_f64 v[11:12], v[15:16], 2.0, -v[3:4]
	v_fma_f64 v[9:10], v[13:14], 2.0, -v[1:2]
	;; [unrolled: 1-line block ×4, first 2 shown]
	ds_write_b128 v17, v[9:12] offset:5632
	ds_write_b128 v17, v[5:8] offset:9216
	;; [unrolled: 1-line block ×4, first 2 shown]
.LBB0_24:
	s_or_b64 exec, exec, s[2:3]
	s_mul_i32 s2, s10, s7
	s_mul_hi_u32 s3, s10, s6
	s_add_i32 s2, s3, s2
	s_mul_i32 s3, s11, s6
	s_add_i32 s2, s2, s3
	s_mul_i32 s3, s10, s6
	s_mul_i32 s6, s13, s16
	s_mul_hi_u32 s7, s12, s16
	s_add_i32 s7, s7, s6
	s_mul_i32 s6, s12, s16
	s_add_u32 s3, s6, s3
	s_addc_u32 s6, s7, s2
	s_mul_i32 s2, s15, s18
	s_mul_hi_u32 s7, s14, s18
	s_add_i32 s7, s7, s2
	s_mul_i32 s2, s14, s18
	s_add_u32 s2, s2, s3
	s_addc_u32 s3, s7, s6
	s_mov_b64 s[6:7], -1
	s_and_b64 vcc, exec, s[0:1]
	s_waitcnt lgkmcnt(0)
	s_barrier
	s_cbranch_vccz .LBB0_26
; %bb.25:
	v_mul_u32_u24_e32 v1, 0x493, v0
	v_lshrrev_b32_e32 v8, 16, v1
	v_mul_lo_u16_e32 v1, 56, v8
	v_sub_u16_e32 v9, v0, v1
	v_mad_u64_u32 v[1:2], s[0:1], s8, v9, 0
	v_mad_u64_u32 v[3:4], s[0:1], s10, v8, 0
	s_movk_i32 s6, 0x493
	v_mad_u64_u32 v[5:6], s[0:1], s9, v9, v[2:3]
	v_mov_b32_e32 v2, v4
	v_mad_u64_u32 v[6:7], s[0:1], s11, v8, v[2:3]
	v_mov_b32_e32 v2, v5
	s_lshl_b64 s[0:1], s[2:3], 4
	s_add_u32 s0, s4, s0
	v_lshlrev_b64 v[1:2], 4, v[1:2]
	s_addc_u32 s1, s5, s1
	v_mov_b32_e32 v4, v6
	v_mov_b32_e32 v6, s1
	v_add_co_u32_e32 v7, vcc, s0, v1
	v_addc_co_u32_e32 v6, vcc, v6, v2, vcc
	v_lshlrev_b64 v[1:2], 4, v[3:4]
	v_or_b32_e32 v3, 0x80, v0
	v_lshlrev_b16_e32 v5, 4, v9
	v_mul_u32_u24_sdwa v4, v3, s6 dst_sel:DWORD dst_unused:UNUSED_PAD src0_sel:WORD_0 src1_sel:DWORD
	v_or_b32_e32 v5, v5, v8
	v_lshrrev_b32_e32 v8, 16, v4
	v_mul_lo_u16_e32 v4, 56, v8
	v_sub_u16_e32 v3, v3, v4
	v_mad_u64_u32 v[9:10], s[12:13], s8, v3, 0
	v_mad_u64_u32 v[13:14], s[12:13], s10, v8, 0
	v_and_b32_e32 v5, 0xffff, v5
	v_add_co_u32_e32 v11, vcc, v7, v1
	v_mov_b32_e32 v1, v10
	v_lshl_add_u32 v5, v5, 4, 0
	v_mad_u64_u32 v[15:16], s[12:13], s9, v3, v[1:2]
	v_mov_b32_e32 v1, v14
	v_addc_co_u32_e32 v12, vcc, v6, v2, vcc
	v_mad_u64_u32 v[16:17], s[12:13], s11, v8, v[1:2]
	v_lshlrev_b16_e32 v6, 4, v3
	ds_read_b128 v[1:4], v5
	v_mov_b32_e32 v10, v15
	v_mov_b32_e32 v14, v16
	v_or_b32_e32 v5, v6, v8
	v_and_b32_e32 v5, 0xffff, v5
	s_waitcnt lgkmcnt(0)
	global_store_dwordx4 v[11:12], v[1:4], off
	v_lshl_add_u32 v5, v5, 4, 0
	v_lshlrev_b64 v[1:2], 4, v[9:10]
	v_mov_b32_e32 v3, s1
	v_add_co_u32_e32 v15, vcc, s0, v1
	v_or_b32_e32 v1, 0x100, v0
	v_addc_co_u32_e32 v16, vcc, v3, v2, vcc
	v_mul_u32_u24_sdwa v2, v1, s6 dst_sel:DWORD dst_unused:UNUSED_PAD src0_sel:WORD_0 src1_sel:DWORD
	v_lshrrev_b32_e32 v17, 16, v2
	v_mul_lo_u16_e32 v2, 56, v17
	v_sub_u16_e32 v18, v1, v2
	v_mad_u64_u32 v[1:2], s[12:13], s8, v18, 0
	v_mad_u64_u32 v[9:10], s[12:13], s10, v17, 0
	ds_read_b128 v[5:8], v5
	v_lshlrev_b64 v[3:4], 4, v[13:14]
	v_mad_u64_u32 v[11:12], s[12:13], s9, v18, v[2:3]
	v_mov_b32_e32 v2, v10
	v_mad_u64_u32 v[12:13], s[12:13], s11, v17, v[2:3]
	v_add_co_u32_e32 v2, vcc, v15, v3
	v_addc_co_u32_e32 v3, vcc, v16, v4, vcc
	s_waitcnt lgkmcnt(0)
	global_store_dwordx4 v[2:3], v[5:8], off
	v_mov_b32_e32 v2, v11
	v_or_b32_e32 v6, 0x180, v0
	v_mul_u32_u24_sdwa v7, v6, s6 dst_sel:DWORD dst_unused:UNUSED_PAD src0_sel:WORD_0 src1_sel:DWORD
	v_lshlrev_b64 v[1:2], 4, v[1:2]
	v_lshrrev_b32_e32 v7, 16, v7
	v_mul_lo_u16_e32 v8, 56, v7
	v_mov_b32_e32 v10, v12
	v_mov_b32_e32 v4, s1
	v_add_co_u32_e32 v5, vcc, s0, v1
	v_sub_u16_e32 v6, v6, v8
	v_addc_co_u32_e32 v4, vcc, v4, v2, vcc
	v_lshlrev_b64 v[1:2], 4, v[9:10]
	v_mad_u64_u32 v[9:10], s[12:13], s8, v6, 0
	v_mad_u64_u32 v[13:14], s[12:13], s10, v7, 0
	v_lshlrev_b16_e32 v3, 4, v18
	v_or_b32_e32 v3, v3, v17
	v_and_b32_e32 v3, 0xffff, v3
	v_add_co_u32_e32 v11, vcc, v5, v1
	v_mov_b32_e32 v1, v10
	v_lshl_add_u32 v3, v3, 4, 0
	v_mad_u64_u32 v[15:16], s[12:13], s9, v6, v[1:2]
	v_mov_b32_e32 v1, v14
	v_addc_co_u32_e32 v12, vcc, v4, v2, vcc
	v_mad_u64_u32 v[16:17], s[12:13], s11, v7, v[1:2]
	ds_read_b128 v[1:4], v3
	v_lshlrev_b16_e32 v5, 4, v6
	v_or_b32_e32 v5, v5, v7
	v_and_b32_e32 v5, 0xffff, v5
	v_lshl_add_u32 v5, v5, 4, 0
	ds_read_b128 v[5:8], v5
	v_mov_b32_e32 v10, v15
	s_waitcnt lgkmcnt(1)
	global_store_dwordx4 v[11:12], v[1:4], off
	v_mov_b32_e32 v14, v16
	v_lshlrev_b64 v[1:2], 4, v[9:10]
	v_mov_b32_e32 v3, s1
	v_add_co_u32_e32 v15, vcc, s0, v1
	v_or_b32_e32 v1, 0x200, v0
	v_addc_co_u32_e32 v16, vcc, v3, v2, vcc
	v_mul_u32_u24_sdwa v2, v1, s6 dst_sel:DWORD dst_unused:UNUSED_PAD src0_sel:WORD_0 src1_sel:DWORD
	v_lshrrev_b32_e32 v17, 16, v2
	v_mul_lo_u16_e32 v2, 56, v17
	v_sub_u16_e32 v18, v1, v2
	v_mad_u64_u32 v[1:2], s[12:13], s8, v18, 0
	v_mad_u64_u32 v[9:10], s[12:13], s10, v17, 0
	v_lshlrev_b64 v[3:4], 4, v[13:14]
	v_mad_u64_u32 v[11:12], s[12:13], s9, v18, v[2:3]
	v_mov_b32_e32 v2, v10
	v_mad_u64_u32 v[12:13], s[12:13], s11, v17, v[2:3]
	v_add_co_u32_e32 v2, vcc, v15, v3
	v_addc_co_u32_e32 v3, vcc, v16, v4, vcc
	s_waitcnt lgkmcnt(0)
	global_store_dwordx4 v[2:3], v[5:8], off
	v_mov_b32_e32 v2, v11
	v_or_b32_e32 v6, 0x280, v0
	v_mul_u32_u24_sdwa v7, v6, s6 dst_sel:DWORD dst_unused:UNUSED_PAD src0_sel:WORD_0 src1_sel:DWORD
	v_lshlrev_b64 v[1:2], 4, v[1:2]
	v_lshrrev_b32_e32 v7, 16, v7
	v_mul_lo_u16_e32 v8, 56, v7
	v_mov_b32_e32 v10, v12
	v_mov_b32_e32 v4, s1
	v_add_co_u32_e32 v5, vcc, s0, v1
	v_sub_u16_e32 v6, v6, v8
	v_addc_co_u32_e32 v4, vcc, v4, v2, vcc
	v_lshlrev_b64 v[1:2], 4, v[9:10]
	v_mad_u64_u32 v[9:10], s[12:13], s8, v6, 0
	v_mad_u64_u32 v[13:14], s[12:13], s10, v7, 0
	v_lshlrev_b16_e32 v3, 4, v18
	v_or_b32_e32 v3, v3, v17
	v_and_b32_e32 v3, 0xffff, v3
	v_add_co_u32_e32 v11, vcc, v5, v1
	v_mov_b32_e32 v1, v10
	v_lshl_add_u32 v3, v3, 4, 0
	v_mad_u64_u32 v[15:16], s[12:13], s9, v6, v[1:2]
	v_mov_b32_e32 v1, v14
	v_addc_co_u32_e32 v12, vcc, v4, v2, vcc
	v_mad_u64_u32 v[16:17], s[12:13], s11, v7, v[1:2]
	ds_read_b128 v[1:4], v3
	v_lshlrev_b16_e32 v5, 4, v6
	v_or_b32_e32 v5, v5, v7
	v_and_b32_e32 v5, 0xffff, v5
	v_lshl_add_u32 v5, v5, 4, 0
	ds_read_b128 v[5:8], v5
	v_mov_b32_e32 v10, v15
	s_waitcnt lgkmcnt(1)
	global_store_dwordx4 v[11:12], v[1:4], off
	v_mov_b32_e32 v14, v16
	v_lshlrev_b64 v[1:2], 4, v[9:10]
	v_mov_b32_e32 v3, s1
	v_add_co_u32_e32 v15, vcc, s0, v1
	v_or_b32_e32 v1, 0x300, v0
	v_addc_co_u32_e32 v16, vcc, v3, v2, vcc
	v_mul_u32_u24_sdwa v2, v1, s6 dst_sel:DWORD dst_unused:UNUSED_PAD src0_sel:WORD_0 src1_sel:DWORD
	v_lshrrev_b32_e32 v17, 16, v2
	v_mul_lo_u16_e32 v2, 56, v17
	v_sub_u16_e32 v18, v1, v2
	v_mad_u64_u32 v[9:10], s[6:7], s8, v18, 0
	v_lshlrev_b64 v[1:2], 4, v[13:14]
	v_mad_u64_u32 v[11:12], s[6:7], s10, v17, 0
	v_mov_b32_e32 v3, v10
	v_mad_u64_u32 v[3:4], s[6:7], s9, v18, v[3:4]
	v_add_co_u32_e32 v1, vcc, v15, v1
	v_addc_co_u32_e32 v2, vcc, v16, v2, vcc
	v_mov_b32_e32 v4, v12
	s_waitcnt lgkmcnt(0)
	global_store_dwordx4 v[1:2], v[5:8], off
	v_lshlrev_b16_e32 v1, 4, v18
	v_mad_u64_u32 v[12:13], s[6:7], s11, v17, v[4:5]
	v_mov_b32_e32 v10, v3
	v_or_b32_e32 v1, v1, v17
	v_and_b32_e32 v1, 0xffff, v1
	v_lshlrev_b64 v[5:6], 4, v[9:10]
	v_lshl_add_u32 v1, v1, 4, 0
	ds_read_b128 v[1:4], v1
	v_mov_b32_e32 v7, s1
	v_add_co_u32_e32 v8, vcc, s0, v5
	v_addc_co_u32_e32 v7, vcc, v7, v6, vcc
	v_lshlrev_b64 v[5:6], 4, v[11:12]
	s_mov_b64 s[6:7], 0
	v_add_co_u32_e32 v5, vcc, v8, v5
	v_addc_co_u32_e32 v6, vcc, v7, v6, vcc
	s_waitcnt lgkmcnt(0)
	global_store_dwordx4 v[5:6], v[1:4], off
.LBB0_26:
	s_andn2_b64 vcc, exec, s[6:7]
	s_cbranch_vccnz .LBB0_30
; %bb.27:
	s_movk_i32 s0, 0x380
	v_cmp_gt_u32_e32 vcc, s0, v0
	s_and_saveexec_b64 s[0:1], vcc
	s_cbranch_execz .LBB0_30
; %bb.28:
	s_lshl_b64 s[0:1], s[2:3], 4
	s_add_u32 s2, s4, s0
	s_addc_u32 s3, s5, s1
	s_mov_b64 s[0:1], 0
	v_mov_b32_e32 v1, s3
	s_movk_i32 s3, 0x37f
.LBB0_29:                               ; =>This Inner Loop Header: Depth=1
	v_lshrrev_b16_e32 v2, 3, v0
	v_mul_u32_u24_e32 v2, 0x2493, v2
	v_lshrrev_b32_e32 v3, 16, v2
	v_mul_lo_u16_e32 v2, 56, v3
	v_mad_u64_u32 v[6:7], s[4:5], s10, v3, 0
	v_sub_u16_e32 v12, v0, v2
	v_mad_u64_u32 v[8:9], s[4:5], s8, v12, 0
	v_lshlrev_b16_e32 v2, 4, v12
	v_add_u16_e32 v4, v2, v3
	v_mov_b32_e32 v2, v7
	v_mad_u64_u32 v[10:11], s[4:5], s11, v3, v[2:3]
	v_mov_b32_e32 v7, v9
	v_mad_u64_u32 v[11:12], s[4:5], s9, v12, v[7:8]
	v_add_u32_e32 v0, 0x80, v0
	v_lshl_add_u32 v4, v4, 4, 0
	v_mov_b32_e32 v9, v11
	v_lshlrev_b64 v[8:9], 4, v[8:9]
	v_cmp_lt_u32_e32 vcc, s3, v0
	ds_read_b128 v[2:5], v4
	v_mov_b32_e32 v7, v10
	s_or_b64 s[0:1], vcc, s[0:1]
	v_lshlrev_b64 v[6:7], 4, v[6:7]
	v_add_co_u32_e32 v8, vcc, s2, v8
	v_addc_co_u32_e32 v9, vcc, v1, v9, vcc
	v_add_co_u32_e32 v6, vcc, v8, v6
	v_addc_co_u32_e32 v7, vcc, v9, v7, vcc
	s_waitcnt lgkmcnt(0)
	global_store_dwordx4 v[6:7], v[2:5], off
	s_andn2_b64 exec, exec, s[0:1]
	s_cbranch_execnz .LBB0_29
.LBB0_30:
	s_endpgm
	.section	.rodata,"a",@progbits
	.p2align	6, 0x0
	.amdhsa_kernel fft_rtc_back_len56_factors_2_7_4_wgs_128_tpt_8_dim3_dp_op_CI_CI_sbcr_dirReg
		.amdhsa_group_segment_fixed_size 0
		.amdhsa_private_segment_fixed_size 0
		.amdhsa_kernarg_size 96
		.amdhsa_user_sgpr_count 6
		.amdhsa_user_sgpr_private_segment_buffer 1
		.amdhsa_user_sgpr_dispatch_ptr 0
		.amdhsa_user_sgpr_queue_ptr 0
		.amdhsa_user_sgpr_kernarg_segment_ptr 1
		.amdhsa_user_sgpr_dispatch_id 0
		.amdhsa_user_sgpr_flat_scratch_init 0
		.amdhsa_user_sgpr_private_segment_size 0
		.amdhsa_uses_dynamic_stack 0
		.amdhsa_system_sgpr_private_segment_wavefront_offset 0
		.amdhsa_system_sgpr_workgroup_id_x 1
		.amdhsa_system_sgpr_workgroup_id_y 0
		.amdhsa_system_sgpr_workgroup_id_z 0
		.amdhsa_system_sgpr_workgroup_info 0
		.amdhsa_system_vgpr_workitem_id 0
		.amdhsa_next_free_vgpr 61
		.amdhsa_next_free_sgpr 40
		.amdhsa_reserve_vcc 1
		.amdhsa_reserve_flat_scratch 0
		.amdhsa_float_round_mode_32 0
		.amdhsa_float_round_mode_16_64 0
		.amdhsa_float_denorm_mode_32 3
		.amdhsa_float_denorm_mode_16_64 3
		.amdhsa_dx10_clamp 1
		.amdhsa_ieee_mode 1
		.amdhsa_fp16_overflow 0
		.amdhsa_exception_fp_ieee_invalid_op 0
		.amdhsa_exception_fp_denorm_src 0
		.amdhsa_exception_fp_ieee_div_zero 0
		.amdhsa_exception_fp_ieee_overflow 0
		.amdhsa_exception_fp_ieee_underflow 0
		.amdhsa_exception_fp_ieee_inexact 0
		.amdhsa_exception_int_div_zero 0
	.end_amdhsa_kernel
	.text
.Lfunc_end0:
	.size	fft_rtc_back_len56_factors_2_7_4_wgs_128_tpt_8_dim3_dp_op_CI_CI_sbcr_dirReg, .Lfunc_end0-fft_rtc_back_len56_factors_2_7_4_wgs_128_tpt_8_dim3_dp_op_CI_CI_sbcr_dirReg
                                        ; -- End function
	.section	.AMDGPU.csdata,"",@progbits
; Kernel info:
; codeLenInByte = 5356
; NumSgprs: 44
; NumVgprs: 61
; ScratchSize: 0
; MemoryBound: 1
; FloatMode: 240
; IeeeMode: 1
; LDSByteSize: 0 bytes/workgroup (compile time only)
; SGPRBlocks: 5
; VGPRBlocks: 15
; NumSGPRsForWavesPerEU: 44
; NumVGPRsForWavesPerEU: 61
; Occupancy: 4
; WaveLimiterHint : 1
; COMPUTE_PGM_RSRC2:SCRATCH_EN: 0
; COMPUTE_PGM_RSRC2:USER_SGPR: 6
; COMPUTE_PGM_RSRC2:TRAP_HANDLER: 0
; COMPUTE_PGM_RSRC2:TGID_X_EN: 1
; COMPUTE_PGM_RSRC2:TGID_Y_EN: 0
; COMPUTE_PGM_RSRC2:TGID_Z_EN: 0
; COMPUTE_PGM_RSRC2:TIDIG_COMP_CNT: 0
	.type	__hip_cuid_44551a438257bc1f,@object ; @__hip_cuid_44551a438257bc1f
	.section	.bss,"aw",@nobits
	.globl	__hip_cuid_44551a438257bc1f
__hip_cuid_44551a438257bc1f:
	.byte	0                               ; 0x0
	.size	__hip_cuid_44551a438257bc1f, 1

	.ident	"AMD clang version 19.0.0git (https://github.com/RadeonOpenCompute/llvm-project roc-6.4.0 25133 c7fe45cf4b819c5991fe208aaa96edf142730f1d)"
	.section	".note.GNU-stack","",@progbits
	.addrsig
	.addrsig_sym __hip_cuid_44551a438257bc1f
	.amdgpu_metadata
---
amdhsa.kernels:
  - .args:
      - .actual_access:  read_only
        .address_space:  global
        .offset:         0
        .size:           8
        .value_kind:     global_buffer
      - .actual_access:  read_only
        .address_space:  global
        .offset:         8
        .size:           8
        .value_kind:     global_buffer
      - .actual_access:  read_only
        .address_space:  global
        .offset:         16
        .size:           8
        .value_kind:     global_buffer
      - .actual_access:  read_only
        .address_space:  global
        .offset:         24
        .size:           8
        .value_kind:     global_buffer
      - .offset:         32
        .size:           8
        .value_kind:     by_value
      - .actual_access:  read_only
        .address_space:  global
        .offset:         40
        .size:           8
        .value_kind:     global_buffer
      - .actual_access:  read_only
        .address_space:  global
        .offset:         48
        .size:           8
        .value_kind:     global_buffer
      - .offset:         56
        .size:           4
        .value_kind:     by_value
      - .actual_access:  read_only
        .address_space:  global
        .offset:         64
        .size:           8
        .value_kind:     global_buffer
      - .actual_access:  read_only
        .address_space:  global
        .offset:         72
        .size:           8
        .value_kind:     global_buffer
      - .actual_access:  read_only
        .address_space:  global
        .offset:         80
        .size:           8
        .value_kind:     global_buffer
      - .actual_access:  write_only
        .address_space:  global
        .offset:         88
        .size:           8
        .value_kind:     global_buffer
    .group_segment_fixed_size: 0
    .kernarg_segment_align: 8
    .kernarg_segment_size: 96
    .language:       OpenCL C
    .language_version:
      - 2
      - 0
    .max_flat_workgroup_size: 128
    .name:           fft_rtc_back_len56_factors_2_7_4_wgs_128_tpt_8_dim3_dp_op_CI_CI_sbcr_dirReg
    .private_segment_fixed_size: 0
    .sgpr_count:     44
    .sgpr_spill_count: 0
    .symbol:         fft_rtc_back_len56_factors_2_7_4_wgs_128_tpt_8_dim3_dp_op_CI_CI_sbcr_dirReg.kd
    .uniform_work_group_size: 1
    .uses_dynamic_stack: false
    .vgpr_count:     61
    .vgpr_spill_count: 0
    .wavefront_size: 64
amdhsa.target:   amdgcn-amd-amdhsa--gfx906
amdhsa.version:
  - 1
  - 2
...

	.end_amdgpu_metadata
